;; amdgpu-corpus repo=zjin-lcf/HeCBench kind=compiled arch=gfx90a opt=O3
	.text
	.amdgcn_target "amdgcn-amd-amdhsa--gfx90a"
	.amdhsa_code_object_version 6
	.protected	_Z5colorPhiiff          ; -- Begin function _Z5colorPhiiff
	.globl	_Z5colorPhiiff
	.p2align	8
	.type	_Z5colorPhiiff,@function
_Z5colorPhiiff:                         ; @_Z5colorPhiiff
; %bb.0:
	s_load_dword s6, s[4:5], 0x24
	s_load_dwordx4 s[12:15], s[4:5], 0x8
	s_add_u32 s0, s0, s10
	s_addc_u32 s1, s1, 0
	v_and_b32_e32 v1, 0x3ff, v0
	s_waitcnt lgkmcnt(0)
	s_and_b32 s7, s6, 0xffff
	s_lshr_b32 s6, s6, 16
	s_mul_i32 s9, s9, s6
	s_mul_i32 s8, s8, s7
	v_bfe_u32 v0, v0, 10, 10
	v_add_u32_e32 v2, s8, v1
	v_add_u32_e32 v0, s9, v0
	v_max_i32_e32 v1, v0, v2
	v_cmp_gt_i32_e32 vcc, s12, v1
	s_and_saveexec_b64 s[6:7], vcc
	s_cbranch_execz .LBB0_3
; %bb.1:
	v_cmp_ne_u32_e32 vcc, s13, v2
	v_cmp_ne_u32_e64 s[6:7], s13, v0
	s_and_b64 s[6:7], s[6:7], vcc
	s_and_b64 exec, exec, s[6:7]
	s_cbranch_execz .LBB0_3
; %bb.2:
	s_load_dwordx2 s[4:5], s[4:5], 0x0
	v_ashrrev_i32_e32 v3, 31, v2
	v_cvt_f32_i32_e32 v4, v2
	v_mad_i64_i32 v[2:3], s[6:7], v0, s12, v[2:3]
	v_cvt_f32_i32_e32 v5, v0
	s_waitcnt lgkmcnt(0)
	v_mad_u64_u32 v[0:1], s[4:5], v2, 3, s[4:5]
	v_mov_b32_e32 v2, v1
	v_mov_b32_e32 v10, 0
	;; [unrolled: 1-line block ×4, first 2 shown]
	buffer_store_dword v10, off, s[0:3], 0 offset:4
	buffer_store_dword v1, off, s[0:3], 0
	buffer_store_dword v1, off, s[0:3], 0 offset:12
	buffer_store_dword v10, off, s[0:3], 0 offset:8
	;; [unrolled: 1-line block ×4, first 2 shown]
	v_mov_b32_e32 v7, 34
	buffer_store_dword v7, off, s[0:3], 0 offset:28
	buffer_store_dword v1, off, s[0:3], 0 offset:24
	;; [unrolled: 1-line block ×5, first 2 shown]
	v_mov_b32_e32 v7, 51
	buffer_store_dword v7, off, s[0:3], 0 offset:40
	v_mov_b32_e32 v7, 0x44
	buffer_store_dword v7, off, s[0:3], 0 offset:52
	buffer_store_dword v1, off, s[0:3], 0 offset:48
	;; [unrolled: 1-line block ×5, first 2 shown]
	v_mov_b32_e32 v11, 0x55
	v_mov_b32_e32 v7, 0x66
	buffer_store_dword v11, off, s[0:3], 0 offset:64
	buffer_store_dword v7, off, s[0:3], 0 offset:76
	;; [unrolled: 1-line block ×6, first 2 shown]
	v_mov_b32_e32 v7, 0x77
	buffer_store_dword v7, off, s[0:3], 0 offset:88
	v_mov_b32_e32 v7, 0x88
	buffer_store_dword v7, off, s[0:3], 0 offset:100
	buffer_store_dword v1, off, s[0:3], 0 offset:96
	;; [unrolled: 1-line block ×5, first 2 shown]
	v_mov_b32_e32 v7, 0x99
	buffer_store_dword v7, off, s[0:3], 0 offset:112
	v_mov_b32_e32 v13, 0xaa
	v_mov_b32_e32 v7, 0xbb
	buffer_store_dword v13, off, s[0:3], 0 offset:124
	buffer_store_dword v1, off, s[0:3], 0 offset:120
	;; [unrolled: 1-line block ×6, first 2 shown]
	v_mov_b32_e32 v7, 0xcc
	buffer_store_dword v7, off, s[0:3], 0 offset:148
	buffer_store_dword v1, off, s[0:3], 0 offset:144
	;; [unrolled: 1-line block ×5, first 2 shown]
	v_mov_b32_e32 v7, 0xdd
	buffer_store_dword v7, off, s[0:3], 0 offset:160
	v_mov_b32_e32 v7, 0xee
	buffer_store_dword v7, off, s[0:3], 0 offset:172
	buffer_store_dword v1, off, s[0:3], 0 offset:168
	;; [unrolled: 1-line block ×7, first 2 shown]
	v_mov_b32_e32 v12, 0xd5
	v_mov_b32_e32 v14, 0x80
	;; [unrolled: 1-line block ×4, first 2 shown]
	buffer_store_dword v12, off, s[0:3], 0 offset:192
	buffer_store_dword v13, off, s[0:3], 0 offset:204
	;; [unrolled: 1-line block ×27, first 2 shown]
	v_mov_b32_e32 v7, 0xe8
	buffer_store_dword v7, off, s[0:3], 0 offset:316
	buffer_store_dword v10, off, s[0:3], 0 offset:312
	buffer_store_dword v10, off, s[0:3], 0 offset:324
	buffer_store_dword v1, off, s[0:3], 0 offset:332
	v_mov_b32_e32 v7, 0xd1
	buffer_store_dword v7, off, s[0:3], 0 offset:328
	v_mov_b32_e32 v7, 0xba
	buffer_store_dword v7, off, s[0:3], 0 offset:340
	buffer_store_dword v10, off, s[0:3], 0 offset:336
	buffer_store_dword v10, off, s[0:3], 0 offset:348
	buffer_store_dword v1, off, s[0:3], 0 offset:356
	v_mov_b32_e32 v7, 0xa3
	buffer_store_dword v7, off, s[0:3], 0 offset:352
	;; [unrolled: 7-line block ×3, first 2 shown]
	buffer_store_dword v10, off, s[0:3], 0 offset:384
	buffer_store_dword v10, off, s[0:3], 0 offset:396
	v_mov_b32_e32 v7, 47
	buffer_store_dword v7, off, s[0:3], 0 offset:412
	buffer_store_dword v10, off, s[0:3], 0 offset:408
	;; [unrolled: 1-line block ×5, first 2 shown]
	v_mov_b32_e32 v7, 19
	buffer_store_dword v7, off, s[0:3], 0 offset:444
	buffer_store_dword v10, off, s[0:3], 0 offset:460
	v_mov_b32_e32 v7, 39
	buffer_store_dword v7, off, s[0:3], 0 offset:456
	v_mov_b32_e32 v7, 58
	v_cvt_f32_i32_e32 v6, s13
	buffer_store_dword v7, off, s[0:3], 0 offset:468
	buffer_store_dword v10, off, s[0:3], 0 offset:484
	v_mov_b32_e32 v7, 0x4e
	buffer_store_dword v7, off, s[0:3], 0 offset:480
	v_mov_b32_e32 v7, 0x62
	buffer_store_dword v7, off, s[0:3], 0 offset:492
	buffer_store_dword v10, off, s[0:3], 0 offset:508
	v_mov_b32_e32 v7, 0x75
	buffer_store_dword v7, off, s[0:3], 0 offset:504
	v_mov_b32_e32 v7, 0x89
	buffer_store_dword v7, off, s[0:3], 0 offset:516
	buffer_store_dword v10, off, s[0:3], 0 offset:532
	v_mov_b32_e32 v7, 0x9c
	v_div_scale_f32 v8, s[4:5], v6, v6, v5
	buffer_store_dword v7, off, s[0:3], 0 offset:528
	v_mov_b32_e32 v7, 0xb0
	v_rcp_f32_e32 v9, v8
	buffer_store_dword v7, off, s[0:3], 0 offset:540
	buffer_store_dword v10, off, s[0:3], 0 offset:556
	v_mov_b32_e32 v7, 0xc4
	buffer_store_dword v7, off, s[0:3], 0 offset:552
	v_mov_b32_e32 v7, 0xd7
	buffer_store_dword v7, off, s[0:3], 0 offset:564
	buffer_store_dword v10, off, s[0:3], 0 offset:580
	v_mov_b32_e32 v7, 0xeb
	buffer_store_dword v7, off, s[0:3], 0 offset:576
	buffer_store_dword v1, off, s[0:3], 0 offset:588
	;; [unrolled: 1-line block ×3, first 2 shown]
	v_fma_f32 v7, -v8, v9, 1.0
	v_fmac_f32_e32 v9, v7, v9
	v_div_scale_f32 v7, vcc, v5, v6, v5
	v_mul_f32_e32 v17, v7, v9
	v_fma_f32 v18, -v8, v17, v7
	v_fmac_f32_e32 v17, v18, v9
	v_fma_f32 v7, -v8, v17, v7
	v_div_scale_f32 v8, s[4:5], v6, v6, v4
	v_rcp_f32_e32 v18, v8
	v_div_fmas_f32 v7, v7, v9, v17
	v_div_fixup_f32 v5, v7, v6, v5
	s_movk_i32 s6, 0x204
	v_fma_f32 v7, -v8, v18, 1.0
	v_fmac_f32_e32 v18, v7, v18
	v_div_scale_f32 v7, vcc, v4, v6, v4
	v_mul_f32_e32 v9, v7, v18
	v_fma_f32 v17, -v8, v9, v7
	v_fmac_f32_e32 v9, v17, v18
	v_fma_f32 v7, -v8, v9, v7
	v_div_fmas_f32 v7, v7, v18, v9
	v_div_fixup_f32 v4, v7, v6, v4
	v_pk_fma_f32 v[4:5], v[4:5], s[14:15], s[14:15] op_sel_hi:[1,0,0] neg_lo:[0,0,1] neg_hi:[0,0,1]
	v_div_scale_f32 v6, s[4:5], s15, s15, v5
	v_rcp_f32_e32 v7, v6
	s_mov_b32 s8, 0x40490fdb
	buffer_store_dword v1, off, s[0:3], 0 offset:600
	buffer_store_dword v1, off, s[0:3], 0 offset:612
	;; [unrolled: 1-line block ×6, first 2 shown]
	v_fma_f32 v8, -v6, v7, 1.0
	v_fmac_f32_e32 v7, v8, v7
	v_div_scale_f32 v8, vcc, v5, s15, v5
	v_mul_f32_e32 v9, v8, v7
	v_fma_f32 v17, -v6, v9, v8
	v_fmac_f32_e32 v9, v17, v7
	v_fma_f32 v6, -v6, v9, v8
	v_div_scale_f32 v8, s[4:5], s15, s15, v4
	v_rcp_f32_e32 v17, v8
	v_div_fmas_f32 v6, v6, v7, v9
	v_div_fixup_f32 v5, v6, s15, v5
	buffer_store_dword v1, off, s[0:3], 0 offset:648
	v_fma_f32 v6, -v8, v17, 1.0
	v_fmac_f32_e32 v17, v6, v17
	v_div_scale_f32 v6, vcc, v4, s15, v4
	v_mul_f32_e32 v7, v6, v17
	v_fma_f32 v9, -v8, v7, v6
	v_fmac_f32_e32 v7, v9, v17
	v_fma_f32 v6, -v8, v7, v6
	v_div_fmas_f32 v6, v6, v17, v7
	v_div_fixup_f32 v4, v6, s15, v4
	v_max_f32_e64 v9, |v4|, |v5|
	v_frexp_mant_f32_e32 v17, v9
	v_rcp_f32_e32 v17, v17
	v_min_f32_e64 v8, |v4|, |v5|
	v_frexp_exp_i32_f32_e32 v9, v9
	v_frexp_exp_i32_f32_e32 v18, v8
	v_frexp_mant_f32_e32 v8, v8
	v_mul_f32_e32 v8, v8, v17
	v_sub_u32_e32 v9, v18, v9
	v_ldexp_f32 v8, v8, v9
	v_mul_f32_e32 v9, v8, v8
	v_mov_b32_e32 v17, 0xbc7a590c
	v_fmac_f32_e32 v17, 0x3b2d2a58, v9
	v_mov_b32_e32 v18, 0x3d29fb3f
	v_fmac_f32_e32 v18, v9, v17
	;; [unrolled: 2-line block ×7, first 2 shown]
	v_mul_f32_e32 v9, v9, v17
	v_fmac_f32_e32 v8, v8, v9
	v_sub_f32_e32 v9, 0x3fc90fdb, v8
	v_cmp_gt_f32_e64 vcc, |v5|, |v4|
	v_cndmask_b32_e32 v8, v8, v9, vcc
	v_xor_b32_e32 v7, 0x80000000, v4
	v_sub_f32_e32 v9, 0x40490fdb, v8
	v_cmp_lt_f32_e32 vcc, 0, v4
	v_cndmask_b32_e32 v8, v8, v9, vcc
	v_mov_b32_e32 v9, 0x40490fdb
	v_cmp_gt_i32_e64 s[4:5], 0, v7
	v_cndmask_b32_e64 v7, 0, v9, s[4:5]
	v_cmp_eq_f32_e64 s[4:5], 0, v5
	v_cndmask_b32_e64 v7, v8, v7, s[4:5]
	v_mov_b32_e32 v8, 0x3f490fdb
	v_mov_b32_e32 v9, 0x4016cbe4
	v_cmp_class_f32_e64 s[4:5], v4, s6
	v_cmp_class_f32_e64 s[6:7], v5, s6
	v_cndmask_b32_e32 v8, v8, v9, vcc
	s_and_b64 vcc, s[6:7], s[4:5]
	v_cndmask_b32_e32 v7, v7, v8, vcc
	v_mov_b32_e32 v8, 0x7fc00000
	v_cmp_o_f32_e32 vcc, v4, v5
	v_xor_b32_e32 v6, 0x80000000, v5
	v_cndmask_b32_e32 v7, v8, v7, vcc
	s_brev_b32 s4, -2
	v_bfi_b32 v6, s4, v7, v6
	v_div_scale_f32 v7, s[4:5], s8, s8, v6
	v_rcp_f32_e32 v8, v7
	s_mov_b32 s4, 0
	v_mov_b32_e32 v19, 0x46
	v_mov_b32_e32 v16, 63
	v_fma_f32 v9, -v7, v8, 1.0
	v_fmac_f32_e32 v8, v9, v8
	v_div_scale_f32 v9, vcc, v6, s8, v6
	v_mul_f32_e32 v17, v9, v8
	v_fma_f32 v18, -v7, v17, v9
	v_fmac_f32_e32 v17, v18, v8
	v_fma_f32 v7, -v7, v17, v9
	v_div_fmas_f32 v7, v7, v8, v17
	v_div_fixup_f32 v6, v7, s8, v6
	v_add_f32_e32 v6, 1.0, v6
	v_mul_f32_e32 v17, 0.5, v6
	v_mul_f32_e32 v6, 0x42580000, v17
	v_cvt_i32_f32_e32 v18, v6
	v_mov_b32_e32 v8, 0x74
	v_pk_mul_f32 v[4:5], v[4:5], v[4:5]
	v_add_f32_e32 v4, v5, v4
	v_mad_u64_u32 v[6:7], s[6:7], v18, 12, s[4:5]
	buffer_load_dword v7, v6, s[0:3], 0 offen
	s_nop 0
	buffer_store_dword v8, off, s[0:3], 0 offset:376
	buffer_store_dword v1, off, s[0:3], 0 offset:404
	v_add_u32_e32 v8, 1, v18
	s_mov_b32 s5, 0x94f2095
	v_mul_hi_i32 v9, v8, s5
	v_lshrrev_b32_e32 v20, 31, v9
	v_lshrrev_b32_e32 v9, 1, v9
	v_add_u32_e32 v9, v9, v20
	v_mul_lo_u32 v9, v9, 55
	v_sub_u32_e32 v8, v8, v9
	v_mad_u64_u32 v[8:9], s[4:5], v8, 12, s[4:5]
	buffer_load_dword v9, v8, s[0:3], 0 offen
	s_nop 0
	buffer_store_dword v19, off, s[0:3], 0 offset:400
	buffer_store_dword v1, off, s[0:3], 0 offset:428
	v_mov_b32_e32 v19, 24
	buffer_store_dword v19, off, s[0:3], 0 offset:424
	buffer_store_dword v1, off, s[0:3], 0 offset:452
	;; [unrolled: 1-line block ×19, first 2 shown]
	buffer_load_dword v10, v6, s[0:3], 0 offen offset:4
	v_mov_b32_e32 v11, 0xbf
	buffer_store_dword v16, off, s[0:3], 0 offset:272
	buffer_store_dword v11, off, s[0:3], 0 offset:296
	;; [unrolled: 1-line block ×14, first 2 shown]
	buffer_load_dword v1, v8, s[0:3], 0 offen offset:4
	s_mov_b32 s4, 0xf800000
	v_mul_f32_e32 v5, 0x4f800000, v4
	v_cmp_gt_f32_e32 vcc, s4, v4
	v_cndmask_b32_e32 v4, v4, v5, vcc
	v_sqrt_f32_e32 v5, v4
	buffer_store_dword v12, off, s[0:3], 0 offset:608
	buffer_store_dword v14, off, s[0:3], 0 offset:632
	;; [unrolled: 1-line block ×3, first 2 shown]
	s_mov_b32 s8, 0x437f0000
	v_add_u32_e32 v11, -1, v5
	v_fma_f32 v12, -v11, v5, v4
	v_cmp_ge_f32_e64 s[4:5], 0, v12
	v_add_u32_e32 v12, 1, v5
	v_cndmask_b32_e64 v11, v5, v11, s[4:5]
	v_fma_f32 v5, -v12, v5, v4
	v_cmp_lt_f32_e64 s[4:5], 0, v5
	v_cndmask_b32_e64 v5, v11, v12, s[4:5]
	buffer_load_dword v12, v8, s[0:3], 0 offen offset:8
	buffer_load_dword v13, v6, s[0:3], 0 offen offset:8
	v_mul_f32_e32 v11, 0x37800000, v5
	v_cndmask_b32_e32 v5, v5, v11, vcc
	v_mov_b32_e32 v11, 0x260
	v_cmp_class_f32_e32 vcc, v4, v11
	v_cndmask_b32_e32 v4, v5, v4, vcc
	v_cvt_f32_i32_e32 v6, v18
	s_waitcnt vmcnt(45)
	v_cvt_f32_i32_e32 v5, v7
	v_div_scale_f32 v7, s[4:5], s8, s8, v5
	v_rcp_f32_e32 v8, v7
	s_mov_b32 s4, 0x42580000
	v_fma_f32 v6, v17, s4, -v6
	v_sub_f32_e32 v11, 1.0, v6
	v_fma_f32 v14, -v7, v8, 1.0
	v_fmac_f32_e32 v8, v14, v8
	v_div_scale_f32 v14, vcc, v5, s8, v5
	s_waitcnt vmcnt(42)
	v_cvt_f32_i32_e32 v9, v9
	v_mul_f32_e32 v15, v14, v8
	v_fma_f32 v16, -v7, v15, v14
	v_fmac_f32_e32 v15, v16, v8
	v_fma_f32 v7, -v7, v15, v14
	v_div_scale_f32 v14, s[4:5], s8, s8, v9
	v_rcp_f32_e32 v16, v14
	v_div_fmas_f32 v7, v7, v8, v15
	v_div_fixup_f32 v5, v7, s8, v5
	s_waitcnt vmcnt(5)
	v_cvt_f32_i32_e32 v1, v1
	v_fma_f32 v7, -v14, v16, 1.0
	v_fmac_f32_e32 v16, v7, v16
	v_div_scale_f32 v7, vcc, v9, s8, v9
	v_mul_f32_e32 v8, v7, v16
	v_fma_f32 v15, -v14, v8, v7
	v_fmac_f32_e32 v8, v15, v16
	v_fma_f32 v7, -v14, v8, v7
	v_div_fmas_f32 v7, v7, v16, v8
	v_cvt_f32_i32_e32 v8, v10
	v_div_fixup_f32 v7, v7, s8, v9
	v_mul_f32_e32 v7, v6, v7
	v_fmac_f32_e32 v7, v11, v5
	v_div_scale_f32 v9, s[4:5], s8, s8, v8
	v_rcp_f32_e32 v10, v9
	v_sub_f32_e32 v5, 1.0, v7
	v_fma_f32 v5, -v4, v5, 1.0
	v_mul_f32_e32 v7, 0x3f400000, v7
	v_cmp_nge_f32_e64 s[4:5], 1.0, v4
	v_cndmask_b32_e64 v5, v5, v7, s[4:5]
	v_fma_f32 v7, -v9, v10, 1.0
	v_fmac_f32_e32 v10, v7, v10
	v_div_scale_f32 v7, vcc, v8, s8, v8
	v_mul_f32_e32 v14, v7, v10
	v_fma_f32 v15, -v9, v14, v7
	v_fmac_f32_e32 v14, v15, v10
	v_fma_f32 v7, -v9, v14, v7
	v_div_scale_f32 v9, s[6:7], s8, s8, v1
	v_rcp_f32_e32 v15, v9
	v_div_fmas_f32 v7, v7, v10, v14
	v_div_fixup_f32 v7, v7, s8, v8
	s_waitcnt vmcnt(1)
	v_cvt_f32_i32_e32 v12, v12
	v_fma_f32 v8, -v9, v15, 1.0
	v_fmac_f32_e32 v15, v8, v15
	v_div_scale_f32 v8, vcc, v1, s8, v1
	v_mul_f32_e32 v10, v8, v15
	v_fma_f32 v14, -v9, v10, v8
	v_fmac_f32_e32 v10, v14, v15
	v_fma_f32 v8, -v9, v10, v8
	v_div_fmas_f32 v8, v8, v15, v10
	v_div_fixup_f32 v1, v8, s8, v1
	s_waitcnt vmcnt(0)
	v_cvt_f32_i32_e32 v8, v13
	v_mul_f32_e32 v1, v6, v1
	v_fmac_f32_e32 v1, v11, v7
	v_sub_f32_e32 v7, 1.0, v1
	v_div_scale_f32 v9, s[6:7], s8, s8, v8
	v_rcp_f32_e32 v10, v9
	v_fma_f32 v7, -v4, v7, 1.0
	v_mul_f32_e32 v1, 0x3f400000, v1
	v_cndmask_b32_e64 v1, v7, v1, s[4:5]
	v_mul_f32_e32 v1, 0x437f0000, v1
	v_cvt_i32_f32_sdwa v7, v1 dst_sel:BYTE_1 dst_unused:UNUSED_PAD src0_sel:DWORD
	v_fma_f32 v1, -v9, v10, 1.0
	v_fmac_f32_e32 v10, v1, v10
	v_div_scale_f32 v1, vcc, v8, s8, v8
	v_mul_f32_e32 v13, v1, v10
	v_fma_f32 v14, -v9, v13, v1
	v_fmac_f32_e32 v13, v14, v10
	v_fma_f32 v1, -v9, v13, v1
	v_div_scale_f32 v9, s[6:7], s8, s8, v12
	v_rcp_f32_e32 v14, v9
	v_div_fmas_f32 v1, v1, v10, v13
	v_div_fixup_f32 v1, v1, s8, v8
	v_mul_f32_e32 v5, 0x437f0000, v5
	v_fma_f32 v8, -v9, v14, 1.0
	v_fmac_f32_e32 v14, v8, v14
	v_div_scale_f32 v8, vcc, v12, s8, v12
	v_mul_f32_e32 v10, v8, v14
	v_fma_f32 v13, -v9, v10, v8
	v_fmac_f32_e32 v10, v13, v14
	v_fma_f32 v8, -v9, v10, v8
	v_div_fmas_f32 v8, v8, v14, v10
	v_div_fixup_f32 v8, v8, s8, v12
	v_mul_f32_e32 v6, v6, v8
	v_fmac_f32_e32 v6, v11, v1
	v_sub_f32_e32 v1, 1.0, v6
	v_fma_f32 v1, -v4, v1, 1.0
	v_mul_f32_e32 v4, 0x3f400000, v6
	v_cndmask_b32_e64 v1, v1, v4, s[4:5]
	v_mul_f32_e32 v1, 0x437f0000, v1
	v_cvt_i32_f32_e32 v5, v5
	v_cvt_i32_f32_e32 v4, v1
	v_mad_u64_u32 v[2:3], s[4:5], v3, 3, v[2:3]
	v_mov_b32_e32 v1, v2
	v_or_b32_sdwa v2, v4, v7 dst_sel:DWORD dst_unused:UNUSED_PAD src0_sel:BYTE_0 src1_sel:DWORD
	global_store_byte v[0:1], v5, off offset:2
	global_store_short v[0:1], v2, off
.LBB0_3:
	s_endpgm
	.section	.rodata,"a",@progbits
	.p2align	6, 0x0
	.amdhsa_kernel _Z5colorPhiiff
		.amdhsa_group_segment_fixed_size 0
		.amdhsa_private_segment_fixed_size 672
		.amdhsa_kernarg_size 280
		.amdhsa_user_sgpr_count 8
		.amdhsa_user_sgpr_private_segment_buffer 1
		.amdhsa_user_sgpr_dispatch_ptr 0
		.amdhsa_user_sgpr_queue_ptr 0
		.amdhsa_user_sgpr_kernarg_segment_ptr 1
		.amdhsa_user_sgpr_dispatch_id 0
		.amdhsa_user_sgpr_flat_scratch_init 1
		.amdhsa_user_sgpr_kernarg_preload_length 0
		.amdhsa_user_sgpr_kernarg_preload_offset 0
		.amdhsa_user_sgpr_private_segment_size 0
		.amdhsa_uses_dynamic_stack 0
		.amdhsa_system_sgpr_private_segment_wavefront_offset 1
		.amdhsa_system_sgpr_workgroup_id_x 1
		.amdhsa_system_sgpr_workgroup_id_y 1
		.amdhsa_system_sgpr_workgroup_id_z 0
		.amdhsa_system_sgpr_workgroup_info 0
		.amdhsa_system_vgpr_workitem_id 1
		.amdhsa_next_free_vgpr 21
		.amdhsa_next_free_sgpr 16
		.amdhsa_accum_offset 24
		.amdhsa_reserve_vcc 1
		.amdhsa_reserve_flat_scratch 0
		.amdhsa_float_round_mode_32 0
		.amdhsa_float_round_mode_16_64 0
		.amdhsa_float_denorm_mode_32 3
		.amdhsa_float_denorm_mode_16_64 3
		.amdhsa_dx10_clamp 1
		.amdhsa_ieee_mode 1
		.amdhsa_fp16_overflow 0
		.amdhsa_tg_split 0
		.amdhsa_exception_fp_ieee_invalid_op 0
		.amdhsa_exception_fp_denorm_src 0
		.amdhsa_exception_fp_ieee_div_zero 0
		.amdhsa_exception_fp_ieee_overflow 0
		.amdhsa_exception_fp_ieee_underflow 0
		.amdhsa_exception_fp_ieee_inexact 0
		.amdhsa_exception_int_div_zero 0
	.end_amdhsa_kernel
	.text
.Lfunc_end0:
	.size	_Z5colorPhiiff, .Lfunc_end0-_Z5colorPhiiff
                                        ; -- End function
	.section	.AMDGPU.csdata,"",@progbits
; Kernel info:
; codeLenInByte = 3452
; NumSgprs: 20
; NumVgprs: 21
; NumAgprs: 0
; TotalNumVgprs: 21
; ScratchSize: 672
; MemoryBound: 0
; FloatMode: 240
; IeeeMode: 1
; LDSByteSize: 0 bytes/workgroup (compile time only)
; SGPRBlocks: 2
; VGPRBlocks: 2
; NumSGPRsForWavesPerEU: 20
; NumVGPRsForWavesPerEU: 21
; AccumOffset: 24
; Occupancy: 8
; WaveLimiterHint : 0
; COMPUTE_PGM_RSRC2:SCRATCH_EN: 1
; COMPUTE_PGM_RSRC2:USER_SGPR: 8
; COMPUTE_PGM_RSRC2:TRAP_HANDLER: 0
; COMPUTE_PGM_RSRC2:TGID_X_EN: 1
; COMPUTE_PGM_RSRC2:TGID_Y_EN: 1
; COMPUTE_PGM_RSRC2:TGID_Z_EN: 0
; COMPUTE_PGM_RSRC2:TIDIG_COMP_CNT: 1
; COMPUTE_PGM_RSRC3_GFX90A:ACCUM_OFFSET: 5
; COMPUTE_PGM_RSRC3_GFX90A:TG_SPLIT: 0
	.text
	.p2alignl 6, 3212836864
	.fill 256, 4, 3212836864
	.type	__hip_cuid_2fc843fd3b0381d2,@object ; @__hip_cuid_2fc843fd3b0381d2
	.section	.bss,"aw",@nobits
	.globl	__hip_cuid_2fc843fd3b0381d2
__hip_cuid_2fc843fd3b0381d2:
	.byte	0                               ; 0x0
	.size	__hip_cuid_2fc843fd3b0381d2, 1

	.ident	"AMD clang version 19.0.0git (https://github.com/RadeonOpenCompute/llvm-project roc-6.4.0 25133 c7fe45cf4b819c5991fe208aaa96edf142730f1d)"
	.section	".note.GNU-stack","",@progbits
	.addrsig
	.addrsig_sym __hip_cuid_2fc843fd3b0381d2
	.amdgpu_metadata
---
amdhsa.kernels:
  - .agpr_count:     0
    .args:
      - .address_space:  global
        .offset:         0
        .size:           8
        .value_kind:     global_buffer
      - .offset:         8
        .size:           4
        .value_kind:     by_value
      - .offset:         12
        .size:           4
        .value_kind:     by_value
      - .offset:         16
        .size:           4
        .value_kind:     by_value
      - .offset:         20
        .size:           4
        .value_kind:     by_value
      - .offset:         24
        .size:           4
        .value_kind:     hidden_block_count_x
      - .offset:         28
        .size:           4
        .value_kind:     hidden_block_count_y
      - .offset:         32
        .size:           4
        .value_kind:     hidden_block_count_z
      - .offset:         36
        .size:           2
        .value_kind:     hidden_group_size_x
      - .offset:         38
        .size:           2
        .value_kind:     hidden_group_size_y
      - .offset:         40
        .size:           2
        .value_kind:     hidden_group_size_z
      - .offset:         42
        .size:           2
        .value_kind:     hidden_remainder_x
      - .offset:         44
        .size:           2
        .value_kind:     hidden_remainder_y
      - .offset:         46
        .size:           2
        .value_kind:     hidden_remainder_z
      - .offset:         64
        .size:           8
        .value_kind:     hidden_global_offset_x
      - .offset:         72
        .size:           8
        .value_kind:     hidden_global_offset_y
      - .offset:         80
        .size:           8
        .value_kind:     hidden_global_offset_z
      - .offset:         88
        .size:           2
        .value_kind:     hidden_grid_dims
    .group_segment_fixed_size: 0
    .kernarg_segment_align: 8
    .kernarg_segment_size: 280
    .language:       OpenCL C
    .language_version:
      - 2
      - 0
    .max_flat_workgroup_size: 1024
    .name:           _Z5colorPhiiff
    .private_segment_fixed_size: 672
    .sgpr_count:     20
    .sgpr_spill_count: 0
    .symbol:         _Z5colorPhiiff.kd
    .uniform_work_group_size: 1
    .uses_dynamic_stack: false
    .vgpr_count:     21
    .vgpr_spill_count: 0
    .wavefront_size: 64
amdhsa.target:   amdgcn-amd-amdhsa--gfx90a
amdhsa.version:
  - 1
  - 2
...

	.end_amdgpu_metadata
